;; amdgpu-corpus repo=ROCm/rocFFT kind=compiled arch=gfx1201 opt=O3
	.text
	.amdgcn_target "amdgcn-amd-amdhsa--gfx1201"
	.amdhsa_code_object_version 6
	.protected	bluestein_single_back_len78_dim1_sp_op_CI_CI ; -- Begin function bluestein_single_back_len78_dim1_sp_op_CI_CI
	.globl	bluestein_single_back_len78_dim1_sp_op_CI_CI
	.p2align	8
	.type	bluestein_single_back_len78_dim1_sp_op_CI_CI,@function
bluestein_single_back_len78_dim1_sp_op_CI_CI: ; @bluestein_single_back_len78_dim1_sp_op_CI_CI
; %bb.0:
	s_load_b128 s[12:15], s[0:1], 0x28
	v_mul_u32_u24_e32 v1, 0x13b2, v0
	s_mov_b32 s2, exec_lo
	s_delay_alu instid0(VALU_DEP_1) | instskip(NEXT) | instid1(VALU_DEP_1)
	v_lshrrev_b32_e32 v1, 16, v1
	v_mad_co_u64_u32 v[48:49], null, ttmp9, 19, v[1:2]
	v_mov_b32_e32 v49, 0
	s_wait_kmcnt 0x0
	s_delay_alu instid0(VALU_DEP_1)
	v_cmpx_gt_u64_e64 s[12:13], v[48:49]
	s_cbranch_execz .LBB0_10
; %bb.1:
	s_clause 0x1
	s_load_b128 s[4:7], s[0:1], 0x18
	s_load_b128 s[8:11], s[0:1], 0x0
	v_mul_lo_u16 v1, v1, 13
	v_mul_hi_u32 v12, 0xaf286bcb, v48
	s_load_b64 s[0:1], s[0:1], 0x38
                                        ; implicit-def: $vgpr38
                                        ; implicit-def: $vgpr40
                                        ; implicit-def: $vgpr44
                                        ; implicit-def: $vgpr63
	s_delay_alu instid0(VALU_DEP_2) | instskip(NEXT) | instid1(VALU_DEP_2)
	v_sub_nc_u16 v16, v0, v1
	v_sub_nc_u32_e32 v13, v48, v12
	s_delay_alu instid0(VALU_DEP_2) | instskip(NEXT) | instid1(VALU_DEP_2)
	v_and_b32_e32 v65, 0xffff, v16
	v_lshrrev_b32_e32 v13, 1, v13
	s_delay_alu instid0(VALU_DEP_2)
	v_lshlrev_b32_e32 v68, 3, v65
	s_wait_kmcnt 0x0
	s_load_b128 s[16:19], s[4:5], 0x0
	s_clause 0x3
	global_load_b64 v[49:50], v68, s[8:9]
	global_load_b64 v[53:54], v68, s[8:9] offset:104
	global_load_b64 v[55:56], v68, s[8:9] offset:208
	;; [unrolled: 1-line block ×3, first 2 shown]
	v_add_nc_u32_e32 v12, v13, v12
	s_delay_alu instid0(VALU_DEP_1) | instskip(NEXT) | instid1(VALU_DEP_1)
	v_lshrrev_b32_e32 v12, 4, v12
	v_mul_lo_u32 v12, v12, 19
	s_wait_kmcnt 0x0
	v_mad_co_u64_u32 v[0:1], null, s18, v48, 0
	v_mad_co_u64_u32 v[2:3], null, s16, v65, 0
	s_mul_u64 s[2:3], s[16:17], 0x68
	s_delay_alu instid0(VALU_DEP_3) | instskip(NEXT) | instid1(VALU_DEP_2)
	v_sub_nc_u32_e32 v12, v48, v12
	v_mad_co_u64_u32 v[4:5], null, s19, v48, v[1:2]
	s_delay_alu instid0(VALU_DEP_2) | instskip(NEXT) | instid1(VALU_DEP_1)
	v_mul_u32_u24_e32 v12, 0x4e, v12
	v_lshlrev_b32_e32 v67, 3, v12
	s_delay_alu instid0(VALU_DEP_3) | instskip(SKIP_1) | instid1(VALU_DEP_3)
	v_mov_b32_e32 v1, v4
	v_mad_co_u64_u32 v[5:6], null, s17, v65, v[3:4]
	v_add_nc_u32_e32 v66, v68, v67
	s_delay_alu instid0(VALU_DEP_3) | instskip(NEXT) | instid1(VALU_DEP_3)
	v_lshlrev_b64_e32 v[0:1], 3, v[0:1]
	v_mov_b32_e32 v3, v5
	s_delay_alu instid0(VALU_DEP_2) | instskip(NEXT) | instid1(VALU_DEP_3)
	v_add_co_u32 v0, vcc_lo, s14, v0
	v_add_co_ci_u32_e32 v1, vcc_lo, s15, v1, vcc_lo
	s_delay_alu instid0(VALU_DEP_3) | instskip(NEXT) | instid1(VALU_DEP_1)
	v_lshlrev_b64_e32 v[2:3], 3, v[2:3]
	v_add_co_u32 v0, vcc_lo, v0, v2
	s_wait_alu 0xfffd
	s_delay_alu instid0(VALU_DEP_2) | instskip(NEXT) | instid1(VALU_DEP_2)
	v_add_co_ci_u32_e32 v1, vcc_lo, v1, v3, vcc_lo
	v_add_co_u32 v2, vcc_lo, v0, s2
	s_wait_alu 0xfffd
	s_delay_alu instid0(VALU_DEP_2) | instskip(SKIP_4) | instid1(VALU_DEP_2)
	v_add_co_ci_u32_e32 v3, vcc_lo, s3, v1, vcc_lo
	global_load_b64 v[0:1], v[0:1], off
	v_add_co_u32 v4, vcc_lo, v2, s2
	s_wait_alu 0xfffd
	v_add_co_ci_u32_e32 v5, vcc_lo, s3, v3, vcc_lo
	v_add_co_u32 v6, vcc_lo, v4, s2
	s_wait_alu 0xfffd
	s_delay_alu instid0(VALU_DEP_2)
	v_add_co_ci_u32_e32 v7, vcc_lo, s3, v5, vcc_lo
	s_clause 0x1
	global_load_b64 v[2:3], v[2:3], off
	global_load_b64 v[4:5], v[4:5], off
	v_add_co_u32 v8, vcc_lo, v6, s2
	s_wait_alu 0xfffd
	v_add_co_ci_u32_e32 v9, vcc_lo, s3, v7, vcc_lo
	global_load_b64 v[6:7], v[6:7], off
	v_add_co_u32 v10, vcc_lo, v8, s2
	v_add_co_u32 v61, s2, s8, v68
	s_wait_alu 0xfffd
	v_add_co_ci_u32_e32 v11, vcc_lo, s3, v9, vcc_lo
	s_wait_alu 0xf1ff
	v_add_co_ci_u32_e64 v62, null, s9, 0, s2
	v_cmp_gt_u16_e32 vcc_lo, 6, v16
	global_load_b64 v[8:9], v[8:9], off
	s_clause 0x1
	global_load_b64 v[57:58], v68, s[8:9] offset:416
	global_load_b64 v[59:60], v68, s[8:9] offset:520
	global_load_b64 v[10:11], v[10:11], off
	s_load_b128 s[4:7], s[6:7], 0x0
	s_wait_loadcnt 0x7
	v_mul_f32_e32 v12, v1, v50
	v_mul_f32_e32 v13, v0, v50
	s_delay_alu instid0(VALU_DEP_2) | instskip(NEXT) | instid1(VALU_DEP_2)
	v_fmac_f32_e32 v12, v0, v49
	v_fma_f32 v13, v1, v49, -v13
	s_wait_loadcnt 0x5
	v_dual_mul_f32 v0, v3, v54 :: v_dual_mul_f32 v15, v4, v56
	v_dual_mul_f32 v1, v2, v54 :: v_dual_mul_f32 v14, v5, v56
	s_delay_alu instid0(VALU_DEP_2) | instskip(SKIP_2) | instid1(VALU_DEP_3)
	v_fmac_f32_e32 v0, v2, v53
	s_wait_loadcnt 0x4
	v_mul_f32_e32 v2, v7, v52
	v_fma_f32 v1, v3, v53, -v1
	v_dual_fmac_f32 v14, v4, v55 :: v_dual_mul_f32 v3, v6, v52
	v_fma_f32 v15, v5, v55, -v15
	s_delay_alu instid0(VALU_DEP_4)
	v_fmac_f32_e32 v2, v6, v51
	s_wait_loadcnt 0x2
	v_mul_f32_e32 v4, v9, v58
	v_mul_f32_e32 v5, v8, v58
	s_wait_loadcnt 0x0
	v_mul_f32_e32 v17, v10, v60
	v_mul_f32_e32 v6, v11, v60
	v_fma_f32 v3, v7, v51, -v3
	v_fmac_f32_e32 v4, v8, v57
	v_fma_f32 v5, v9, v57, -v5
	v_fma_f32 v7, v11, v59, -v17
	v_fmac_f32_e32 v6, v10, v59
	ds_store_2addr_b64 v66, v[12:13], v[0:1] offset1:13
	ds_store_2addr_b64 v66, v[14:15], v[2:3] offset0:26 offset1:39
	ds_store_2addr_b64 v66, v[4:5], v[6:7] offset0:52 offset1:65
	global_wb scope:SCOPE_SE
	s_wait_dscnt 0x0
	s_wait_kmcnt 0x0
	s_barrier_signal -1
	s_barrier_wait -1
	global_inv scope:SCOPE_SE
	ds_load_2addr_b64 v[0:3], v66 offset1:13
	ds_load_2addr_b64 v[4:7], v66 offset0:26 offset1:39
	ds_load_2addr_b64 v[8:11], v66 offset0:52 offset1:65
	v_mul_lo_u16 v12, v16, 6
	global_wb scope:SCOPE_SE
	s_wait_dscnt 0x0
	s_barrier_signal -1
	s_barrier_wait -1
	global_inv scope:SCOPE_SE
	v_dual_add_f32 v19, v3, v7 :: v_dual_and_b32 v12, 0xffff, v12
	s_delay_alu instid0(VALU_DEP_1) | instskip(SKIP_3) | instid1(VALU_DEP_2)
	v_lshl_add_u32 v69, v12, 3, v67
	v_dual_add_f32 v12, v0, v4 :: v_dual_add_f32 v15, v1, v5
	v_add_f32_e32 v13, v4, v8
	v_add_f32_e32 v17, v6, v10
	v_fma_f32 v0, -0.5, v13, v0
	v_sub_f32_e32 v18, v7, v11
	v_dual_add_f32 v7, v7, v11 :: v_dual_sub_f32 v4, v4, v8
	s_delay_alu instid0(VALU_DEP_1) | instskip(SKIP_4) | instid1(VALU_DEP_3)
	v_dual_fmac_f32 v3, -0.5, v7 :: v_dual_add_f32 v16, v2, v6
	v_sub_f32_e32 v14, v5, v9
	v_add_f32_e32 v5, v5, v9
	v_fma_f32 v2, -0.5, v17, v2
	v_add_f32_e32 v9, v15, v9
	v_fma_f32 v1, -0.5, v5, v1
	v_add_f32_e32 v5, v16, v10
	v_sub_f32_e32 v6, v6, v10
	v_dual_add_f32 v10, v19, v11 :: v_dual_fmamk_f32 v7, v14, 0x3f5db3d7, v0
	s_delay_alu instid0(VALU_DEP_4) | instskip(SKIP_2) | instid1(VALU_DEP_1)
	v_fmamk_f32 v11, v4, 0xbf5db3d7, v1
	v_dual_fmac_f32 v1, 0x3f5db3d7, v4 :: v_dual_fmamk_f32 v4, v18, 0x3f5db3d7, v2
	v_fmac_f32_e32 v2, 0xbf5db3d7, v18
	v_dual_add_f32 v8, v12, v8 :: v_dual_mul_f32 v13, -0.5, v2
	v_dual_fmamk_f32 v12, v6, 0xbf5db3d7, v3 :: v_dual_sub_f32 v31, v9, v10
	v_fmac_f32_e32 v3, 0x3f5db3d7, v6
	v_fmac_f32_e32 v0, 0xbf5db3d7, v14
	s_delay_alu instid0(VALU_DEP_4) | instskip(NEXT) | instid1(VALU_DEP_3)
	v_dual_add_f32 v25, v9, v10 :: v_dual_add_f32 v24, v8, v5
	v_fmac_f32_e32 v13, 0x3f5db3d7, v3
	v_dual_mul_f32 v15, -0.5, v3 :: v_dual_mul_f32 v14, 0xbf5db3d7, v4
	s_delay_alu instid0(VALU_DEP_1) | instskip(NEXT) | instid1(VALU_DEP_2)
	v_dual_add_f32 v28, v0, v13 :: v_dual_fmac_f32 v15, 0xbf5db3d7, v2
	v_fmac_f32_e32 v14, 0.5, v12
	v_mul_f32_e32 v6, 0x3f5db3d7, v12
	v_sub_f32_e32 v30, v8, v5
	s_delay_alu instid0(VALU_DEP_4) | instskip(NEXT) | instid1(VALU_DEP_4)
	v_dual_sub_f32 v34, v0, v13 :: v_dual_add_f32 v29, v1, v15
	v_sub_f32_e32 v33, v11, v14
	s_delay_alu instid0(VALU_DEP_4) | instskip(NEXT) | instid1(VALU_DEP_1)
	v_dual_add_f32 v27, v11, v14 :: v_dual_fmac_f32 v6, 0.5, v4
	v_dual_sub_f32 v35, v1, v15 :: v_dual_add_f32 v26, v7, v6
	v_sub_f32_e32 v32, v7, v6
	ds_store_b128 v69, v[24:27]
	ds_store_b128 v69, v[28:31] offset:16
	ds_store_b128 v69, v[32:35] offset:32
	global_wb scope:SCOPE_SE
	s_wait_dscnt 0x0
	s_barrier_signal -1
	s_barrier_wait -1
	global_inv scope:SCOPE_SE
	s_and_saveexec_b32 s2, vcc_lo
	s_cbranch_execz .LBB0_3
; %bb.2:
	ds_load_2addr_b64 v[24:27], v66 offset1:6
	ds_load_2addr_b64 v[28:31], v66 offset0:12 offset1:18
	ds_load_2addr_b64 v[32:35], v66 offset0:24 offset1:30
	;; [unrolled: 1-line block ×5, first 2 shown]
	ds_load_b64 v[63:64], v66 offset:576
.LBB0_3:
	s_wait_alu 0xfffe
	s_or_b32 exec_lo, exec_lo, s2
	v_and_b32_e32 v0, 0xff, v65
	s_delay_alu instid0(VALU_DEP_1) | instskip(NEXT) | instid1(VALU_DEP_1)
	v_mul_lo_u16 v0, 0xab, v0
	v_lshrrev_b16 v0, 10, v0
	s_delay_alu instid0(VALU_DEP_1) | instskip(NEXT) | instid1(VALU_DEP_1)
	v_mul_lo_u16 v0, v0, 6
	v_sub_nc_u16 v0, v65, v0
	s_delay_alu instid0(VALU_DEP_1) | instskip(NEXT) | instid1(VALU_DEP_1)
	v_mul_lo_u16 v0, v0, 12
	v_and_b32_e32 v0, 0xfc, v0
	s_delay_alu instid0(VALU_DEP_1)
	v_lshlrev_b32_e32 v20, 3, v0
	s_clause 0x5
	global_load_b128 v[16:19], v20, s[10:11]
	global_load_b128 v[8:11], v20, s[10:11] offset:16
	global_load_b128 v[4:7], v20, s[10:11] offset:32
	;; [unrolled: 1-line block ×5, first 2 shown]
	s_wait_loadcnt_dscnt 0x404
	v_dual_mul_f32 v82, v27, v17 :: v_dual_mul_f32 v85, v33, v11
	v_mul_f32_e32 v81, v26, v17
	s_wait_loadcnt_dscnt 0x102
	v_dual_mul_f32 v83, v29, v19 :: v_dual_mul_f32 v70, v42, v13
	s_wait_loadcnt_dscnt 0x0
	v_mul_f32_e32 v97, v64, v23
	v_dual_mul_f32 v80, v28, v19 :: v_dual_mul_f32 v77, v34, v5
	v_dual_mul_f32 v79, v30, v9 :: v_dual_mul_f32 v78, v32, v11
	v_mul_f32_e32 v75, v38, v1
	v_dual_mul_f32 v90, v35, v5 :: v_dual_mul_f32 v93, v41, v3
	v_dual_mul_f32 v76, v36, v7 :: v_dual_fmac_f32 v81, v27, v16
	v_dual_mul_f32 v92, v39, v1 :: v_dual_mul_f32 v95, v45, v15
	v_dual_mul_f32 v74, v40, v3 :: v_dual_fmac_f32 v79, v31, v8
	v_dual_mul_f32 v94, v43, v13 :: v_dual_mul_f32 v71, v44, v15
	v_dual_mul_f32 v72, v46, v21 :: v_dual_mul_f32 v73, v63, v23
	v_mul_f32_e32 v96, v47, v21
	v_fma_f32 v89, v26, v16, -v82
	v_fma_f32 v26, v63, v22, -v97
	v_dual_mul_f32 v84, v31, v9 :: v_dual_mul_f32 v91, v37, v7
	v_fma_f32 v88, v28, v18, -v83
	v_dual_fmac_f32 v80, v29, v18 :: v_dual_fmac_f32 v77, v35, v4
	v_fma_f32 v86, v32, v10, -v85
	v_dual_fmac_f32 v78, v33, v10 :: v_dual_fmac_f32 v75, v39, v0
	;; [unrolled: 2-line block ×3, first 2 shown]
	v_fma_f32 v27, v44, v14, -v95
	v_fmac_f32_e32 v73, v64, v22
	v_fma_f32 v40, v46, v20, -v96
	v_dual_fmac_f32 v72, v47, v20 :: v_dual_add_f32 v95, v89, v26
	v_fmac_f32_e32 v76, v37, v6
	v_fmac_f32_e32 v74, v41, v2
	v_fma_f32 v41, v42, v12, -v94
	s_delay_alu instid0(VALU_DEP_4)
	v_sub_f32_e32 v31, v80, v72
	v_fma_f32 v87, v30, v8, -v84
	v_fma_f32 v85, v34, v4, -v90
	;; [unrolled: 1-line block ×4, first 2 shown]
	v_dual_sub_f32 v28, v89, v26 :: v_dual_sub_f32 v33, v79, v71
	v_dual_sub_f32 v29, v81, v73 :: v_dual_add_f32 v98, v88, v40
	v_add_f32_e32 v99, v80, v72
	v_dual_sub_f32 v30, v88, v40 :: v_dual_add_f32 v113, v86, v41
	v_dual_add_f32 v104, v79, v71 :: v_dual_sub_f32 v35, v78, v70
	v_dual_sub_f32 v34, v86, v41 :: v_dual_sub_f32 v37, v77, v74
	v_dual_sub_f32 v38, v76, v75 :: v_dual_mul_f32 v97, 0xbeedf032, v28
	v_dual_add_f32 v96, v81, v73 :: v_dual_add_f32 v103, v87, v27
	v_dual_sub_f32 v32, v87, v27 :: v_dual_add_f32 v117, v85, v82
	v_dual_add_f32 v114, v78, v70 :: v_dual_add_f32 v121, v84, v83
	v_dual_add_f32 v118, v77, v74 :: v_dual_sub_f32 v39, v84, v83
	v_dual_sub_f32 v36, v85, v82 :: v_dual_mul_f32 v93, 0xbeedf032, v29
	v_dual_mul_f32 v92, 0xbf52af12, v31 :: v_dual_mul_f32 v107, 0xbf52af12, v29
	v_dual_mul_f32 v94, 0xbf52af12, v30 :: v_dual_mul_f32 v119, 0xbf52af12, v37
	;; [unrolled: 1-line block ×13, first 2 shown]
	v_dual_mul_f32 v37, 0xbf6f5d39, v37 :: v_dual_add_f32 v126, v76, v75
	v_mul_f32_e32 v91, 0xbf7e222b, v32
	v_dual_mul_f32 v42, 0xbe750f2a, v38 :: v_dual_mul_f32 v123, 0xbe750f2a, v31
	v_mul_f32_e32 v44, 0xbe750f2a, v39
	v_dual_mul_f32 v100, 0x3eedf032, v38 :: v_dual_mul_f32 v133, 0x3eedf032, v33
	v_dual_mul_f32 v102, 0x3eedf032, v39 :: v_dual_mul_f32 v141, 0x3eedf032, v32
	v_mul_f32_e32 v105, 0xbf29c268, v38
	v_dual_mul_f32 v128, 0x3eedf032, v34 :: v_dual_mul_f32 v151, 0x3eedf032, v36
	v_mul_f32_e32 v132, 0x3f52af12, v38
	v_mul_f32_e32 v136, 0x3f52af12, v39
	;; [unrolled: 1-line block ×3, first 2 shown]
	v_fma_f32 v63, 0x3f62ad3f, v96, -v97
	v_mul_f32_e32 v108, 0xbe750f2a, v33
	v_fmamk_f32 v166, v95, 0x3f116cb1, v107
	v_fma_f32 v168, 0x3f116cb1, v96, -v116
	v_mul_f32_e32 v125, 0xbf29c268, v39
	v_fmamk_f32 v178, v95, 0x3df6dbef, v124
	v_mul_f32_e32 v127, 0xbf52af12, v36
	v_mul_f32_e32 v36, 0xbf6f5d39, v36
	v_dual_fmamk_f32 v180, v103, 0xbeb58ec6, v122 :: v_dual_fmamk_f32 v207, v121, 0xbeb58ec6, v143
	v_mul_f32_e32 v38, 0x3f7e222b, v39
	v_dual_fmamk_f32 v39, v95, 0x3f62ad3f, v93 :: v_dual_fmamk_f32 v176, v121, 0x3f62ad3f, v100
	v_fma_f32 v184, 0x3df6dbef, v96, -v131
	v_fmamk_f32 v190, v95, 0xbeb58ec6, v138
	v_fma_f32 v192, 0xbeb58ec6, v96, -v144
	v_mul_f32_e32 v33, 0xbf29c268, v33
	v_fma_f32 v222, 0xbeb58ec6, v117, -v37
	v_fmac_f32_e32 v37, 0xbeb58ec6, v117
	v_mul_f32_e32 v149, 0xbf29c268, v29
	v_mul_f32_e32 v110, 0xbe750f2a, v32
	;; [unrolled: 1-line block ×5, first 2 shown]
	v_fma_f32 v169, 0xbeb58ec6, v99, -v115
	v_fmamk_f32 v225, v126, 0x3df6dbef, v38
	v_fma_f32 v226, 0x3df6dbef, v126, -v38
	v_add_f32_e32 v38, v24, v39
	v_add_f32_e32 v39, v25, v63
	v_dual_add_f32 v63, v24, v166 :: v_dual_add_f32 v166, v25, v168
	v_add_f32_e32 v168, v24, v178
	v_add_f32_e32 v178, v25, v184
	;; [unrolled: 1-line block ×4, first 2 shown]
	v_fma_f32 v218, 0xbf3f9e67, v103, -v33
	v_fmac_f32_e32 v33, 0xbf3f9e67, v103
	v_fmamk_f32 v202, v95, 0xbf3f9e67, v149
	v_mul_f32_e32 v155, 0xbf29c268, v28
	v_dual_mul_f32 v47, 0xbf6f5d39, v34 :: v_dual_mul_f32 v106, 0xbf6f5d39, v31
	v_fma_f32 v214, 0xbf788fa5, v95, -v29
	s_delay_alu instid0(VALU_DEP_4)
	v_add_f32_e32 v192, v24, v202
	v_mul_f32_e32 v148, 0x3f7e222b, v31
	v_mul_f32_e32 v31, 0x3eedf032, v31
	v_fma_f32 v208, 0xbf3f9e67, v96, -v155
	v_dual_mul_f32 v109, 0x3f29c268, v35 :: v_dual_mul_f32 v142, 0x3f29c268, v30
	v_mul_f32_e32 v153, 0xbf52af12, v32
	v_fma_f32 v157, 0x3f116cb1, v99, -v94
	v_mul_f32_e32 v154, 0x3f7e222b, v30
	v_dual_fmamk_f32 v160, v113, 0xbeb58ec6, v45 :: v_dual_fmamk_f32 v167, v98, 0xbeb58ec6, v106
	v_dual_fmamk_f32 v164, v121, 0xbf788fa5, v42 :: v_dual_fmamk_f32 v179, v98, 0xbf788fa5, v123
	v_mul_f32_e32 v134, 0xbf7e222b, v35
	v_dual_fmamk_f32 v170, v103, 0xbf788fa5, v108 :: v_dual_fmac_f32 v29, 0xbf788fa5, v95
	v_mul_f32_e32 v130, 0xbe750f2a, v30
	v_mul_f32_e32 v30, 0x3eedf032, v30
	v_dual_fmamk_f32 v191, v98, 0xbf3f9e67, v137 :: v_dual_add_f32 v202, v25, v208
	v_fma_f32 v215, 0x3f62ad3f, v98, -v31
	v_add_f32_e32 v208, v24, v214
	v_mul_f32_e32 v146, 0x3e750f2a, v35
	v_mul_f32_e32 v35, 0x3f52af12, v35
	v_fmamk_f32 v64, v98, 0x3f116cb1, v92
	v_dual_mul_f32 v152, 0x3e750f2a, v34 :: v_dual_add_f32 v63, v167, v63
	v_mul_f32_e32 v32, 0xbf29c268, v32
	v_fma_f32 v159, 0x3df6dbef, v104, -v91
	v_fma_f32 v171, 0xbf788fa5, v104, -v110
	;; [unrolled: 1-line block ×3, first 2 shown]
	v_fmac_f32_e32 v31, 0x3f62ad3f, v98
	v_fmac_f32_e32 v35, 0x3f116cb1, v113
	v_dual_fmamk_f32 v183, v121, 0xbf3f9e67, v105 :: v_dual_add_f32 v38, v64, v38
	v_dual_add_f32 v29, v24, v29 :: v_dual_mul_f32 v28, 0xbe750f2a, v28
	v_add_f32_e32 v39, v157, v39
	v_add_f32_e32 v64, v169, v166
	v_mul_f32_e32 v34, 0x3f52af12, v34
	v_fma_f32 v173, 0xbf3f9e67, v114, -v111
	v_add_f32_e32 v29, v31, v29
	v_add_f32_e32 v31, v159, v39
	v_dual_add_f32 v39, v171, v64 :: v_dual_fmamk_f32 v216, v96, 0xbf788fa5, v28
	v_fma_f32 v28, 0xbf788fa5, v96, -v28
	v_fma_f32 v161, 0xbeb58ec6, v114, -v47
	v_dual_fmamk_f32 v174, v117, 0x3df6dbef, v101 :: v_dual_fmamk_f32 v203, v98, 0x3df6dbef, v148
	v_dual_fmamk_f32 v181, v113, 0x3f62ad3f, v120 :: v_dual_fmamk_f32 v194, v103, 0x3f62ad3f, v133
	;; [unrolled: 1-line block ×3, first 2 shown]
	v_fma_f32 v30, 0x3f62ad3f, v99, -v30
	v_add_f32_e32 v28, v25, v28
	v_add_f32_e32 v157, v179, v168
	v_add_f32_e32 v167, v191, v184
	v_fmamk_f32 v158, v103, 0x3df6dbef, v90
	v_add_f32_e32 v179, v215, v208
	v_add_f32_e32 v29, v33, v29
	v_dual_fmamk_f32 v162, v117, 0xbf3f9e67, v43 :: v_dual_fmamk_f32 v219, v104, 0xbf3f9e67, v32
	v_fma_f32 v185, 0xbf788fa5, v99, -v130
	v_fma_f32 v193, 0xbf3f9e67, v99, -v142
	s_delay_alu instid0(VALU_DEP_4)
	v_dual_fmamk_f32 v200, v121, 0x3f116cb1, v132 :: v_dual_add_f32 v29, v35, v29
	v_dual_fmamk_f32 v204, v103, 0x3f116cb1, v147 :: v_dual_add_f32 v31, v161, v31
	;; [unrolled: 1-line block ×3, first 2 shown]
	v_fma_f32 v32, 0xbf3f9e67, v104, -v32
	v_dual_add_f32 v169, v203, v192 :: v_dual_fmamk_f32 v172, v113, 0xbf3f9e67, v109
	v_add_f32_e32 v30, v158, v38
	v_dual_add_f32 v38, v170, v63 :: v_dual_add_f32 v63, v180, v157
	v_add_f32_e32 v157, v194, v167
	v_dual_add_f32 v167, v218, v179 :: v_dual_fmamk_f32 v196, v113, 0x3df6dbef, v134
	v_add_f32_e32 v33, v173, v39
	v_dual_fmamk_f32 v223, v118, 0xbeb58ec6, v36 :: v_dual_add_f32 v214, v25, v216
	v_fma_f32 v163, 0xbf3f9e67, v118, -v46
	v_fma_f32 v175, 0x3df6dbef, v118, -v112
	;; [unrolled: 1-line block ×4, first 2 shown]
	v_fmamk_f32 v198, v117, 0xbf788fa5, v135
	v_fma_f32 v201, 0x3f116cb1, v126, -v136
	v_dual_add_f32 v166, v185, v178 :: v_dual_add_f32 v31, v163, v31
	v_dual_add_f32 v168, v193, v190 :: v_dual_add_f32 v33, v175, v33
	v_add_f32_e32 v159, v204, v169
	v_add_f32_e32 v28, v32, v28
	;; [unrolled: 1-line block ×3, first 2 shown]
	v_dual_add_f32 v38, v181, v63 :: v_dual_add_f32 v63, v196, v157
	v_add_f32_e32 v184, v217, v214
	v_fma_f32 v177, 0x3f62ad3f, v126, -v102
	v_fma_f32 v187, 0x3f62ad3f, v114, -v128
	;; [unrolled: 1-line block ×3, first 2 shown]
	v_add_f32_e32 v161, v198, v63
	v_fmamk_f32 v221, v114, 0x3f116cb1, v34
	v_fma_f32 v224, 0x3df6dbef, v121, -v156
	v_dual_fmac_f32 v156, 0x3df6dbef, v121 :: v_dual_add_f32 v157, v205, v159
	v_add_f32_e32 v64, v186, v166
	v_dual_add_f32 v158, v195, v168 :: v_dual_add_f32 v159, v220, v167
	v_add_f32_e32 v168, v219, v184
	s_delay_alu instid0(VALU_DEP_3) | instskip(SKIP_4) | instid1(VALU_DEP_4)
	v_dual_fmamk_f32 v182, v117, 0x3f116cb1, v119 :: v_dual_add_f32 v39, v187, v64
	v_fma_f32 v188, 0x3f116cb1, v118, -v127
	v_fma_f32 v197, 0x3df6dbef, v114, -v139
	;; [unrolled: 1-line block ×3, first 2 shown]
	v_dual_add_f32 v178, v209, v202 :: v_dual_add_f32 v159, v222, v159
	v_add_f32_e32 v35, v188, v39
	v_dual_add_f32 v163, v37, v29 :: v_dual_add_f32 v30, v160, v30
	v_add_f32_e32 v160, v221, v168
	v_fma_f32 v189, 0xbf3f9e67, v126, -v125
	v_fma_f32 v199, 0xbf788fa5, v118, -v140
	;; [unrolled: 1-line block ×3, first 2 shown]
	v_add_f32_e32 v166, v210, v178
	v_add_f32_e32 v157, v206, v157
	;; [unrolled: 1-line block ×5, first 2 shown]
	v_fma_f32 v212, 0x3f62ad3f, v118, -v151
	v_fma_f32 v34, 0x3f116cb1, v114, -v34
	v_add_f32_e32 v158, v211, v166
	v_fma_f32 v213, 0xbeb58ec6, v126, -v150
	v_dual_add_f32 v29, v225, v160 :: v_dual_add_f32 v30, v162, v30
	v_add_f32_e32 v162, v199, v64
	v_fma_f32 v36, 0xbeb58ec6, v118, -v36
	v_add_f32_e32 v158, v212, v158
	v_fma_f32 v165, 0xbf788fa5, v126, -v44
	s_delay_alu instid0(VALU_DEP_4) | instskip(SKIP_2) | instid1(VALU_DEP_2)
	v_dual_add_f32 v32, v174, v32 :: v_dual_add_f32 v35, v201, v162
	v_dual_add_f32 v28, v34, v28 :: v_dual_add_f32 v63, v164, v30
	;; [unrolled: 1-line block ×4, first 2 shown]
	v_add_f32_e32 v64, v165, v31
	v_add_f32_e32 v38, v176, v32
	s_delay_alu instid0(VALU_DEP_4)
	v_add_f32_e32 v36, v183, v34
	v_add_f32_e32 v34, v200, v161
	;; [unrolled: 1-line block ×4, first 2 shown]
	v_dual_add_f32 v30, v156, v163 :: v_dual_add_f32 v31, v226, v166
	s_and_saveexec_b32 s2, vcc_lo
	s_cbranch_execz .LBB0_5
; %bb.4:
	v_dual_mul_f32 v156, 0x3f62ad3f, v95 :: v_dual_mul_f32 v157, 0x3f62ad3f, v96
	v_dual_mul_f32 v158, 0x3f116cb1, v95 :: v_dual_mul_f32 v159, 0x3f116cb1, v96
	;; [unrolled: 1-line block ×10, first 2 shown]
	v_dual_add_f32 v96, v155, v96 :: v_dual_mul_f32 v155, 0xbf788fa5, v117
	v_dual_mul_f32 v172, 0x3df6dbef, v103 :: v_dual_mul_f32 v173, 0x3df6dbef, v104
	v_dual_mul_f32 v174, 0xbf788fa5, v103 :: v_dual_mul_f32 v175, 0xbf788fa5, v104
	;; [unrolled: 1-line block ×5, first 2 shown]
	v_dual_mul_f32 v194, 0xbf788fa5, v118 :: v_dual_add_f32 v99, v154, v99
	v_dual_add_f32 v96, v25, v96 :: v_dual_mul_f32 v195, 0xbf788fa5, v126
	v_dual_mul_f32 v180, 0xbeb58ec6, v113 :: v_dual_mul_f32 v181, 0xbeb58ec6, v114
	v_dual_mul_f32 v182, 0xbf3f9e67, v113 :: v_dual_mul_f32 v183, 0xbf3f9e67, v114
	;; [unrolled: 1-line block ×5, first 2 shown]
	v_mul_f32_e32 v154, 0xbf788fa5, v121
	v_add_f32_e32 v96, v99, v96
	v_dual_add_f32 v99, v153, v104 :: v_dual_mul_f32 v188, 0xbf3f9e67, v117
	v_mul_f32_e32 v189, 0xbf3f9e67, v118
	v_dual_mul_f32 v190, 0x3df6dbef, v117 :: v_dual_mul_f32 v191, 0x3df6dbef, v118
	v_dual_mul_f32 v192, 0x3f116cb1, v117 :: v_dual_mul_f32 v193, 0x3f116cb1, v118
	;; [unrolled: 1-line block ×3, first 2 shown]
	v_mul_f32_e32 v104, 0xbf3f9e67, v121
	v_dual_sub_f32 v95, v95, v149 :: v_dual_sub_f32 v98, v98, v148
	v_mul_f32_e32 v149, 0xbf3f9e67, v126
	v_dual_mul_f32 v153, 0x3f116cb1, v121 :: v_dual_add_f32 v96, v99, v96
	v_dual_add_f32 v99, v152, v114 :: v_dual_mul_f32 v196, 0x3f62ad3f, v121
	v_mul_f32_e32 v197, 0x3f62ad3f, v126
	v_dual_add_f32 v95, v24, v95 :: v_dual_mul_f32 v114, 0x3f116cb1, v126
	v_mul_f32_e32 v126, 0xbeb58ec6, v126
	s_delay_alu instid0(VALU_DEP_4) | instskip(SKIP_1) | instid1(VALU_DEP_4)
	v_add_f32_e32 v96, v99, v96
	v_dual_add_f32 v99, v151, v118 :: v_dual_add_f32 v118, v144, v163
	v_add_f32_e32 v95, v98, v95
	v_dual_sub_f32 v98, v103, v147 :: v_dual_mul_f32 v103, 0xbeb58ec6, v121
	s_delay_alu instid0(VALU_DEP_3) | instskip(SKIP_1) | instid1(VALU_DEP_3)
	v_dual_add_f32 v96, v99, v96 :: v_dual_sub_f32 v113, v113, v146
	v_add_f32_e32 v99, v150, v126
	v_add_f32_e32 v98, v98, v95
	v_dual_add_f32 v118, v25, v118 :: v_dual_add_f32 v121, v142, v171
	v_sub_f32_e32 v126, v103, v143
	s_delay_alu instid0(VALU_DEP_4) | instskip(SKIP_4) | instid1(VALU_DEP_3)
	v_dual_add_f32 v95, v99, v96 :: v_dual_sub_f32 v96, v162, v138
	v_sub_f32_e32 v99, v117, v145
	v_add_f32_e32 v98, v113, v98
	v_add_f32_e32 v113, v121, v118
	v_dual_add_f32 v117, v141, v179 :: v_dual_sub_f32 v118, v170, v137
	v_dual_add_f32 v96, v24, v96 :: v_dual_add_f32 v121, v99, v98
	v_dual_sub_f32 v103, v155, v135 :: v_dual_add_f32 v114, v136, v114
	s_delay_alu instid0(VALU_DEP_2)
	v_dual_add_f32 v115, v115, v167 :: v_dual_add_f32 v96, v118, v96
	v_add_f32_e32 v118, v130, v169
	v_add_f32_e32 v99, v117, v113
	;; [unrolled: 1-line block ×5, first 2 shown]
	v_dual_sub_f32 v106, v166, v106 :: v_dual_add_f32 v111, v111, v183
	s_delay_alu instid0(VALU_DEP_4) | instskip(NEXT) | instid1(VALU_DEP_4)
	v_add_f32_e32 v99, v113, v99
	v_dual_sub_f32 v117, v178, v133 :: v_dual_add_f32 v98, v25, v98
	v_add_f32_e32 v113, v140, v194
	v_dual_add_f32 v47, v47, v181 :: v_dual_sub_f32 v42, v154, v42
	s_delay_alu instid0(VALU_DEP_3) | instskip(NEXT) | instid1(VALU_DEP_4)
	v_dual_add_f32 v96, v117, v96 :: v_dual_sub_f32 v117, v186, v134
	v_add_f32_e32 v98, v118, v98
	v_add_f32_e32 v118, v129, v177
	v_add_f32_e32 v99, v113, v99
	s_delay_alu instid0(VALU_DEP_4) | instskip(NEXT) | instid1(VALU_DEP_3)
	v_dual_add_f32 v113, v128, v185 :: v_dual_add_f32 v96, v117, v96
	v_dual_sub_f32 v117, v160, v124 :: v_dual_add_f32 v98, v118, v98
	v_add_f32_e32 v118, v127, v193
	v_sub_f32_e32 v45, v180, v45
	v_sub_f32_e32 v43, v188, v43
	s_delay_alu instid0(VALU_DEP_4)
	v_dual_add_f32 v117, v24, v117 :: v_dual_add_f32 v96, v103, v96
	v_add_f32_e32 v113, v113, v98
	v_sub_f32_e32 v103, v153, v132
	v_sub_f32_e32 v123, v168, v123
	v_add_f32_e32 v99, v114, v99
	v_add_f32_e32 v114, v116, v159
	;; [unrolled: 1-line block ×5, first 2 shown]
	v_dual_add_f32 v96, v118, v113 :: v_dual_sub_f32 v113, v176, v122
	v_dual_add_f32 v114, v25, v114 :: v_dual_sub_f32 v107, v158, v107
	s_delay_alu instid0(VALU_DEP_2) | instskip(NEXT) | instid1(VALU_DEP_2)
	v_dual_add_f32 v46, v46, v189 :: v_dual_add_f32 v103, v113, v103
	v_dual_sub_f32 v113, v184, v120 :: v_dual_add_f32 v114, v115, v114
	s_delay_alu instid0(VALU_DEP_1) | instskip(NEXT) | instid1(VALU_DEP_2)
	v_dual_add_f32 v107, v24, v107 :: v_dual_add_f32 v110, v110, v114
	v_add_f32_e32 v113, v113, v103
	s_delay_alu instid0(VALU_DEP_2) | instskip(SKIP_1) | instid1(VALU_DEP_4)
	v_dual_add_f32 v106, v106, v107 :: v_dual_add_f32 v103, v116, v96
	v_sub_f32_e32 v107, v174, v108
	v_dual_sub_f32 v115, v192, v119 :: v_dual_add_f32 v108, v111, v110
	v_add_f32_e32 v110, v112, v191
	s_delay_alu instid0(VALU_DEP_3) | instskip(NEXT) | instid1(VALU_DEP_2)
	v_dual_add_f32 v106, v107, v106 :: v_dual_sub_f32 v107, v182, v109
	v_dual_add_f32 v81, v25, v81 :: v_dual_add_f32 v108, v110, v108
	s_delay_alu instid0(VALU_DEP_4) | instskip(NEXT) | instid1(VALU_DEP_3)
	v_add_f32_e32 v96, v115, v113
	v_add_f32_e32 v106, v107, v106
	s_delay_alu instid0(VALU_DEP_3) | instskip(NEXT) | instid1(VALU_DEP_1)
	v_dual_add_f32 v102, v102, v197 :: v_dual_add_f32 v81, v81, v80
	v_dual_add_f32 v89, v24, v89 :: v_dual_add_f32 v80, v102, v108
	s_delay_alu instid0(VALU_DEP_2) | instskip(NEXT) | instid1(VALU_DEP_2)
	v_add_f32_e32 v79, v81, v79
	v_dual_add_f32 v88, v89, v88 :: v_dual_sub_f32 v89, v190, v101
	s_delay_alu instid0(VALU_DEP_2) | instskip(NEXT) | instid1(VALU_DEP_2)
	v_dual_sub_f32 v101, v104, v105 :: v_dual_add_f32 v78, v79, v78
	v_dual_add_f32 v81, v88, v87 :: v_dual_add_f32 v88, v97, v157
	s_delay_alu instid0(VALU_DEP_2) | instskip(NEXT) | instid1(VALU_DEP_2)
	v_dual_add_f32 v102, v101, v96 :: v_dual_add_f32 v77, v78, v77
	v_add_f32_e32 v79, v81, v86
	v_sub_f32_e32 v81, v156, v93
	v_add_f32_e32 v86, v94, v165
	v_add_f32_e32 v94, v126, v121
	;; [unrolled: 1-line block ×3, first 2 shown]
	s_delay_alu instid0(VALU_DEP_4) | instskip(NEXT) | instid1(VALU_DEP_2)
	v_dual_add_f32 v24, v24, v81 :: v_dual_add_f32 v87, v89, v106
	v_dual_add_f32 v78, v79, v85 :: v_dual_add_f32 v75, v76, v75
	v_add_f32_e32 v25, v25, v88
	v_sub_f32_e32 v89, v196, v100
	s_delay_alu instid0(VALU_DEP_3) | instskip(SKIP_2) | instid1(VALU_DEP_3)
	v_add_f32_e32 v77, v78, v84
	v_dual_sub_f32 v79, v164, v92 :: v_dual_add_f32 v78, v91, v173
	v_add_f32_e32 v74, v75, v74
	v_add_f32_e32 v76, v77, v83
	s_delay_alu instid0(VALU_DEP_3) | instskip(SKIP_1) | instid1(VALU_DEP_2)
	v_dual_add_f32 v24, v79, v24 :: v_dual_sub_f32 v79, v172, v90
	v_add_f32_e32 v25, v86, v25
	v_dual_add_f32 v75, v76, v82 :: v_dual_add_f32 v24, v79, v24
	v_add_f32_e32 v79, v89, v87
	s_delay_alu instid0(VALU_DEP_2) | instskip(NEXT) | instid1(VALU_DEP_4)
	v_dual_add_f32 v41, v75, v41 :: v_dual_add_f32 v24, v45, v24
	v_add_f32_e32 v25, v78, v25
	s_delay_alu instid0(VALU_DEP_2) | instskip(NEXT) | instid1(VALU_DEP_3)
	v_add_f32_e32 v27, v41, v27
	v_dual_add_f32 v41, v44, v195 :: v_dual_add_f32 v24, v43, v24
	s_delay_alu instid0(VALU_DEP_3) | instskip(NEXT) | instid1(VALU_DEP_3)
	v_add_f32_e32 v25, v47, v25
	v_dual_add_f32 v47, v74, v70 :: v_dual_add_f32 v40, v27, v40
	s_delay_alu instid0(VALU_DEP_3) | instskip(NEXT) | instid1(VALU_DEP_3)
	v_add_f32_e32 v24, v42, v24
	v_add_f32_e32 v25, v46, v25
	s_delay_alu instid0(VALU_DEP_3) | instskip(SKIP_1) | instid1(VALU_DEP_3)
	v_dual_add_f32 v45, v47, v71 :: v_dual_add_f32 v26, v40, v26
	v_lshl_add_u32 v40, v65, 3, v67
	v_add_f32_e32 v25, v41, v25
	s_delay_alu instid0(VALU_DEP_3) | instskip(NEXT) | instid1(VALU_DEP_1)
	v_add_f32_e32 v43, v45, v72
	v_add_f32_e32 v27, v43, v73
	ds_store_b64 v66, v[26:27]
	ds_store_2addr_b64 v40, v[24:25], v[79:80] offset0:6 offset1:12
	ds_store_2addr_b64 v40, v[102:103], v[98:99] offset0:18 offset1:24
	;; [unrolled: 1-line block ×6, first 2 shown]
.LBB0_5:
	s_wait_alu 0xfffe
	s_or_b32 exec_lo, exec_lo, s2
	s_add_nc_u64 s[2:3], s[8:9], 0x270
	global_wb scope:SCOPE_SE
	s_wait_dscnt 0x0
	s_barrier_signal -1
	s_barrier_wait -1
	global_inv scope:SCOPE_SE
	s_clause 0x5
	global_load_b64 v[40:41], v[61:62], off offset:624
	global_load_b64 v[42:43], v68, s[2:3] offset:104
	global_load_b64 v[44:45], v68, s[2:3] offset:208
	;; [unrolled: 1-line block ×5, first 2 shown]
	ds_load_2addr_b64 v[24:27], v66 offset1:13
	s_wait_loadcnt_dscnt 0x500
	v_mul_f32_e32 v68, v25, v41
	s_wait_loadcnt 0x4
	v_dual_mul_f32 v73, v24, v41 :: v_dual_mul_f32 v74, v27, v43
	v_mul_f32_e32 v41, v26, v43
	s_delay_alu instid0(VALU_DEP_3) | instskip(NEXT) | instid1(VALU_DEP_3)
	v_fma_f32 v72, v24, v40, -v68
	v_fmac_f32_e32 v73, v25, v40
	s_delay_alu instid0(VALU_DEP_4) | instskip(NEXT) | instid1(VALU_DEP_4)
	v_fma_f32 v40, v26, v42, -v74
	v_fmac_f32_e32 v41, v27, v42
	ds_store_2addr_b64 v66, v[72:73], v[40:41] offset1:13
	ds_load_2addr_b64 v[24:27], v66 offset0:26 offset1:39
	ds_load_2addr_b64 v[40:43], v66 offset0:52 offset1:65
	s_wait_loadcnt_dscnt 0x301
	v_mul_f32_e32 v68, v25, v45
	s_wait_loadcnt 0x2
	v_dual_mul_f32 v72, v24, v45 :: v_dual_mul_f32 v73, v27, v47
	s_wait_loadcnt_dscnt 0x100
	v_dual_mul_f32 v74, v41, v62 :: v_dual_mul_f32 v45, v26, v47
	s_wait_loadcnt 0x0
	v_dual_mul_f32 v47, v40, v62 :: v_dual_mul_f32 v62, v42, v71
	v_mul_f32_e32 v75, v43, v71
	v_fma_f32 v71, v24, v44, -v68
	v_fmac_f32_e32 v72, v25, v44
	v_fma_f32 v44, v26, v46, -v73
	v_fmac_f32_e32 v45, v27, v46
	v_fma_f32 v46, v40, v61, -v74
	v_dual_fmac_f32 v47, v41, v61 :: v_dual_fmac_f32 v62, v43, v70
	v_fma_f32 v61, v42, v70, -v75
	ds_store_2addr_b64 v66, v[71:72], v[44:45] offset0:26 offset1:39
	ds_store_2addr_b64 v66, v[46:47], v[61:62] offset0:52 offset1:65
	global_wb scope:SCOPE_SE
	s_wait_dscnt 0x0
	s_barrier_signal -1
	s_barrier_wait -1
	global_inv scope:SCOPE_SE
	ds_load_2addr_b64 v[24:27], v66 offset1:13
	ds_load_2addr_b64 v[40:43], v66 offset0:26 offset1:39
	ds_load_2addr_b64 v[44:47], v66 offset0:52 offset1:65
	global_wb scope:SCOPE_SE
	s_wait_dscnt 0x0
	s_barrier_signal -1
	s_barrier_wait -1
	global_inv scope:SCOPE_SE
	v_dual_add_f32 v61, v24, v40 :: v_dual_sub_f32 v68, v41, v45
	v_add_f32_e32 v62, v40, v44
	v_add_f32_e32 v70, v25, v41
	v_dual_add_f32 v41, v41, v45 :: v_dual_sub_f32 v40, v40, v44
	v_dual_add_f32 v71, v26, v42 :: v_dual_add_f32 v74, v27, v43
	v_dual_add_f32 v72, v42, v46 :: v_dual_sub_f32 v73, v43, v47
	v_dual_add_f32 v43, v43, v47 :: v_dual_sub_f32 v42, v42, v46
	v_dual_add_f32 v44, v61, v44 :: v_dual_add_f32 v45, v70, v45
	v_fma_f32 v61, -0.5, v62, v24
	v_fma_f32 v62, -0.5, v41, v25
	;; [unrolled: 1-line block ×3, first 2 shown]
	v_fmac_f32_e32 v27, -0.5, v43
	v_add_f32_e32 v41, v71, v46
	v_add_f32_e32 v47, v74, v47
	v_fmamk_f32 v43, v68, 0xbf5db3d7, v61
	v_dual_fmac_f32 v61, 0x3f5db3d7, v68 :: v_dual_fmamk_f32 v68, v40, 0x3f5db3d7, v62
	v_fmac_f32_e32 v62, 0xbf5db3d7, v40
	v_fmamk_f32 v40, v73, 0xbf5db3d7, v26
	v_fmac_f32_e32 v26, 0x3f5db3d7, v73
	v_dual_fmamk_f32 v46, v42, 0x3f5db3d7, v27 :: v_dual_add_f32 v25, v45, v47
	v_dual_fmac_f32 v27, 0xbf5db3d7, v42 :: v_dual_add_f32 v24, v44, v41
	v_sub_f32_e32 v47, v45, v47
	s_delay_alu instid0(VALU_DEP_3) | instskip(SKIP_1) | instid1(VALU_DEP_4)
	v_mul_f32_e32 v71, 0.5, v46
	v_mul_f32_e32 v42, 0xbf5db3d7, v46
	v_mul_f32_e32 v70, 0xbf5db3d7, v27
	v_mul_f32_e32 v72, -0.5, v27
	s_delay_alu instid0(VALU_DEP_4) | instskip(NEXT) | instid1(VALU_DEP_4)
	v_dual_sub_f32 v46, v44, v41 :: v_dual_fmac_f32 v71, 0x3f5db3d7, v40
	v_fmac_f32_e32 v42, 0.5, v40
	s_delay_alu instid0(VALU_DEP_2) | instskip(SKIP_1) | instid1(VALU_DEP_2)
	v_dual_fmac_f32 v72, 0x3f5db3d7, v26 :: v_dual_sub_f32 v41, v68, v71
	v_dual_fmac_f32 v70, -0.5, v26 :: v_dual_add_f32 v27, v68, v71
	v_dual_add_f32 v45, v62, v72 :: v_dual_add_f32 v26, v43, v42
	v_dual_sub_f32 v40, v43, v42 :: v_dual_sub_f32 v43, v62, v72
	s_delay_alu instid0(VALU_DEP_3)
	v_add_f32_e32 v44, v61, v70
	v_sub_f32_e32 v42, v61, v70
	ds_store_b128 v69, v[24:27]
	ds_store_b128 v69, v[44:47] offset:16
	ds_store_b128 v69, v[40:43] offset:32
	global_wb scope:SCOPE_SE
	s_wait_dscnt 0x0
	s_barrier_signal -1
	s_barrier_wait -1
	global_inv scope:SCOPE_SE
	s_and_saveexec_b32 s2, vcc_lo
	s_cbranch_execz .LBB0_7
; %bb.6:
	ds_load_2addr_b64 v[24:27], v66 offset1:6
	ds_load_2addr_b64 v[44:47], v66 offset0:12 offset1:18
	ds_load_2addr_b64 v[40:43], v66 offset0:24 offset1:30
	;; [unrolled: 1-line block ×5, first 2 shown]
	ds_load_b64 v[63:64], v66 offset:576
.LBB0_7:
	s_wait_alu 0xfffe
	s_or_b32 exec_lo, exec_lo, s2
	s_and_saveexec_b32 s2, vcc_lo
	s_cbranch_execz .LBB0_9
; %bb.8:
	s_wait_dscnt 0x0
	v_dual_mul_f32 v61, v23, v63 :: v_dual_mul_f32 v62, v17, v26
	v_dual_mul_f32 v68, v21, v38 :: v_dual_mul_f32 v69, v19, v44
	;; [unrolled: 1-line block ×3, first 2 shown]
	s_delay_alu instid0(VALU_DEP_3) | instskip(NEXT) | instid1(VALU_DEP_4)
	v_fma_f32 v61, v22, v64, -v61
	v_fma_f32 v62, v16, v27, -v62
	s_delay_alu instid0(VALU_DEP_4) | instskip(SKIP_2) | instid1(VALU_DEP_2)
	v_fma_f32 v64, v20, v39, -v68
	v_fma_f32 v68, v18, v45, -v69
	v_dual_mul_f32 v45, v19, v45 :: v_dual_fmac_f32 v70, v16, v26
	v_dual_add_f32 v27, v61, v62 :: v_dual_add_f32 v26, v64, v68
	v_mul_f32_e32 v19, v21, v39
	s_delay_alu instid0(VALU_DEP_3) | instskip(SKIP_1) | instid1(VALU_DEP_4)
	v_dual_fmac_f32 v45, v18, v44 :: v_dual_mul_f32 v44, v9, v47
	v_mul_f32_e32 v39, v9, v46
	v_mul_f32_e32 v18, 0x3f62ad3f, v26
	s_delay_alu instid0(VALU_DEP_4) | instskip(SKIP_2) | instid1(VALU_DEP_3)
	v_dual_fmac_f32 v19, v20, v38 :: v_dual_mul_f32 v38, v15, v36
	v_dual_mul_f32 v20, 0xbf788fa5, v27 :: v_dual_mul_f32 v9, v13, v34
	v_sub_f32_e32 v76, v68, v64
	v_sub_f32_e32 v16, v45, v19
	v_fmac_f32_e32 v23, v22, v63
	v_fma_f32 v38, v14, v37, -v38
	v_mul_f32_e32 v37, v15, v37
	s_delay_alu instid0(VALU_DEP_4) | instskip(NEXT) | instid1(VALU_DEP_4)
	v_dual_mul_f32 v15, v11, v40 :: v_dual_fmamk_f32 v22, v16, 0xbeedf032, v18
	v_dual_sub_f32 v17, v70, v23 :: v_dual_fmac_f32 v44, v8, v46
	v_mul_f32_e32 v91, 0x3f7e222b, v76
	s_delay_alu instid0(VALU_DEP_3)
	v_fma_f32 v46, v10, v41, -v15
	v_mul_f32_e32 v41, v11, v41
	v_mul_f32_e32 v11, v5, v42
	;; [unrolled: 1-line block ×5, first 2 shown]
	v_fmac_f32_e32 v41, v10, v40
	v_mul_f32_e32 v10, v3, v32
	v_fma_f32 v39, v8, v47, -v39
	v_fma_f32 v71, v4, v43, -v11
	v_mul_f32_e32 v43, v5, v43
	v_mul_f32_e32 v5, v7, v28
	v_fma_f32 v40, v2, v33, -v10
	v_add_f32_e32 v47, v38, v39
	v_fmac_f32_e32 v37, v14, v36
	v_fma_f32 v36, v12, v35, -v9
	v_fma_f32 v74, v6, v29, -v5
	v_dual_add_f32 v72, v40, v71 :: v_dual_mul_f32 v29, v7, v29
	v_dual_fmamk_f32 v14, v17, 0x3f29c268, v84 :: v_dual_sub_f32 v79, v39, v38
	v_mul_f32_e32 v33, v3, v33
	v_dual_fmamk_f32 v21, v17, 0x3e750f2a, v20 :: v_dual_sub_f32 v8, v44, v37
	s_delay_alu instid0(VALU_DEP_3) | instskip(NEXT) | instid1(VALU_DEP_3)
	v_dual_fmac_f32 v29, v6, v28 :: v_dual_mul_f32 v80, 0xbf29c268, v79
	v_dual_fmac_f32 v33, v2, v32 :: v_dual_mul_f32 v2, v1, v30
	v_dual_mul_f32 v35, v13, v35 :: v_dual_mul_f32 v92, 0x3f62ad3f, v72
	v_dual_add_f32 v5, v23, v70 :: v_dual_sub_f32 v28, v46, v36
	s_delay_alu instid0(VALU_DEP_3) | instskip(SKIP_3) | instid1(VALU_DEP_4)
	v_fma_f32 v73, v0, v31, -v2
	v_mul_f32_e32 v32, 0xbeb58ec6, v72
	v_mul_f32_e32 v87, 0x3f116cb1, v47
	;; [unrolled: 1-line block ×3, first 2 shown]
	v_dual_mul_f32 v81, 0x3f52af12, v28 :: v_dual_sub_f32 v86, v74, v73
	v_mul_f32_e32 v31, v1, v31
	v_add_f32_e32 v77, v73, v74
	v_dual_fmac_f32 v43, v4, v42 :: v_dual_sub_f32 v42, v62, v61
	s_delay_alu instid0(VALU_DEP_4) | instskip(NEXT) | instid1(VALU_DEP_3)
	v_mul_f32_e32 v88, 0x3f7e222b, v86
	v_dual_fmac_f32 v31, v0, v30 :: v_dual_mul_f32 v82, 0x3df6dbef, v77
	v_dual_fmac_f32 v35, v12, v34 :: v_dual_sub_f32 v30, v71, v40
	s_delay_alu instid0(VALU_DEP_2) | instskip(SKIP_2) | instid1(VALU_DEP_4)
	v_dual_mul_f32 v75, 0xbe750f2a, v42 :: v_dual_sub_f32 v6, v29, v31
	v_dual_mul_f32 v63, 0xbf3f9e67, v47 :: v_dual_sub_f32 v4, v43, v33
	v_add_f32_e32 v21, v25, v21
	v_dual_sub_f32 v9, v41, v35 :: v_dual_mul_f32 v114, 0xbf7e222b, v42
	s_delay_alu instid0(VALU_DEP_3) | instskip(SKIP_1) | instid1(VALU_DEP_4)
	v_fmamk_f32 v12, v8, 0x3f29c268, v63
	v_mul_f32_e32 v121, 0xbf3f9e67, v77
	v_add_f32_e32 v21, v22, v21
	v_mul_f32_e32 v83, 0xbf6f5d39, v30
	v_dual_mul_f32 v97, 0x3eedf032, v30 :: v_dual_mul_f32 v106, 0x3eedf032, v79
	s_delay_alu instid0(VALU_DEP_4) | instskip(NEXT) | instid1(VALU_DEP_4)
	v_fmamk_f32 v123, v6, 0x3f29c268, v121
	v_add_f32_e32 v3, v12, v21
	v_add_f32_e32 v69, v36, v46
	v_dual_mul_f32 v103, 0x3f29c268, v76 :: v_dual_add_f32 v12, v33, v43
	v_mul_f32_e32 v113, 0x3f52af12, v86
	v_mul_f32_e32 v93, 0xbf52af12, v79
	s_delay_alu instid0(VALU_DEP_4)
	v_mul_f32_e32 v34, 0x3f116cb1, v69
	v_mul_f32_e32 v101, 0xbf6f5d39, v42
	v_fmamk_f32 v13, v12, 0xbeb58ec6, v83
	v_fmamk_f32 v22, v12, 0x3f62ad3f, v97
	v_mul_f32_e32 v98, 0xbf3f9e67, v26
	v_dual_fmamk_f32 v10, v9, 0xbf52af12, v34 :: v_dual_mul_f32 v127, 0xbf52af12, v42
	v_mul_f32_e32 v111, 0xbf788fa5, v26
	v_mul_f32_e32 v109, 0x3e750f2a, v30
	;; [unrolled: 1-line block ×3, first 2 shown]
	s_delay_alu instid0(VALU_DEP_4) | instskip(SKIP_2) | instid1(VALU_DEP_3)
	v_dual_add_f32 v2, v10, v3 :: v_dual_fmamk_f32 v11, v5, 0xbf788fa5, v75
	v_dual_add_f32 v10, v19, v45 :: v_dual_add_f32 v7, v37, v44
	v_mul_f32_e32 v90, 0xbf788fa5, v69
	v_dual_mul_f32 v128, 0xbf3f9e67, v69 :: v_dual_add_f32 v1, v24, v11
	s_delay_alu instid0(VALU_DEP_3) | instskip(SKIP_3) | instid1(VALU_DEP_4)
	v_fmamk_f32 v11, v10, 0x3f62ad3f, v78
	v_fmamk_f32 v105, v10, 0xbf3f9e67, v103
	;; [unrolled: 1-line block ×3, first 2 shown]
	v_dual_mul_f32 v85, 0x3df6dbef, v26 :: v_dual_mul_f32 v102, 0x3df6dbef, v69
	v_add_f32_e32 v0, v11, v1
	v_fmamk_f32 v1, v7, 0xbf3f9e67, v80
	v_mul_f32_e32 v99, 0x3f62ad3f, v47
	v_fmamk_f32 v133, v10, 0xbeb58ec6, v131
	v_mul_f32_e32 v122, 0x3f116cb1, v27
	v_mul_f32_e32 v94, 0x3e750f2a, v28
	v_add_f32_e32 v0, v1, v0
	v_fmamk_f32 v116, v5, 0x3df6dbef, v114
	v_mul_f32_e32 v89, 0xbf29c268, v42
	v_mul_f32_e32 v95, 0xbeb58ec6, v77
	v_fmamk_f32 v130, v5, 0x3f116cb1, v127
	v_mul_f32_e32 v120, 0x3f6f5d39, v79
	s_delay_alu instid0(VALU_DEP_4) | instskip(SKIP_3) | instid1(VALU_DEP_4)
	v_dual_add_f32 v116, v24, v116 :: v_dual_fmamk_f32 v15, v5, 0xbf3f9e67, v89
	v_mul_f32_e32 v104, 0xbf788fa5, v72
	v_mul_f32_e32 v134, 0xbe750f2a, v79
	v_add_f32_e32 v130, v24, v130
	v_dual_mul_f32 v118, 0x3f116cb1, v72 :: v_dual_add_f32 v15, v24, v15
	v_add_f32_e32 v11, v35, v41
	v_dual_fmamk_f32 v107, v4, 0xbe750f2a, v104 :: v_dual_add_f32 v62, v62, v25
	v_mul_f32_e32 v117, 0xbe750f2a, v76
	v_fmac_f32_e32 v34, 0x3f52af12, v9
	s_delay_alu instid0(VALU_DEP_4) | instskip(SKIP_1) | instid1(VALU_DEP_4)
	v_fmamk_f32 v1, v11, 0x3f116cb1, v81
	v_fmac_f32_e32 v20, 0xbe750f2a, v17
	v_dual_add_f32 v62, v68, v62 :: v_dual_fmamk_f32 v119, v10, 0xbf788fa5, v117
	v_add_f32_e32 v68, v24, v70
	s_delay_alu instid0(VALU_DEP_4) | instskip(SKIP_2) | instid1(VALU_DEP_4)
	v_dual_add_f32 v0, v1, v0 :: v_dual_fmamk_f32 v3, v4, 0x3f6f5d39, v32
	v_mul_f32_e32 v42, 0xbeedf032, v42
	v_fmac_f32_e32 v32, 0xbf6f5d39, v4
	v_add_f32_e32 v45, v45, v68
	s_delay_alu instid0(VALU_DEP_4) | instskip(SKIP_2) | instid1(VALU_DEP_4)
	v_add_f32_e32 v0, v13, v0
	v_dual_add_f32 v2, v3, v2 :: v_dual_fmamk_f32 v3, v6, 0xbf7e222b, v82
	v_add_f32_e32 v13, v31, v29
	v_dual_mul_f32 v125, 0xbeb58ec6, v26 :: v_dual_add_f32 v44, v44, v45
	s_delay_alu instid0(VALU_DEP_3) | instskip(SKIP_1) | instid1(VALU_DEP_4)
	v_dual_fmamk_f32 v68, v5, 0x3f62ad3f, v42 :: v_dual_add_f32 v1, v3, v2
	v_dual_add_f32 v2, v25, v14 :: v_dual_fmamk_f32 v3, v16, 0xbf7e222b, v85
	v_fmamk_f32 v14, v13, 0x3df6dbef, v88
	v_fmamk_f32 v115, v13, 0x3f116cb1, v113
	v_dual_add_f32 v41, v41, v44 :: v_dual_fmac_f32 v82, 0x3f7e222b, v6
	s_delay_alu instid0(VALU_DEP_4) | instskip(NEXT) | instid1(VALU_DEP_4)
	v_dual_add_f32 v2, v3, v2 :: v_dual_fmamk_f32 v3, v8, 0x3f52af12, v87
	v_add_f32_e32 v0, v14, v0
	v_dual_add_f32 v14, v21, v15 :: v_dual_fmamk_f32 v15, v7, 0x3f116cb1, v93
	v_mul_f32_e32 v108, 0x3df6dbef, v27
	s_delay_alu instid0(VALU_DEP_4) | instskip(SKIP_1) | instid1(VALU_DEP_3)
	v_dual_add_f32 v2, v3, v2 :: v_dual_fmamk_f32 v3, v9, 0xbe750f2a, v90
	v_fmamk_f32 v21, v17, 0x3f6f5d39, v96
	v_dual_add_f32 v41, v43, v41 :: v_dual_fmamk_f32 v110, v17, 0x3f7e222b, v108
	v_add_f32_e32 v68, v24, v68
	s_delay_alu instid0(VALU_DEP_4) | instskip(NEXT) | instid1(VALU_DEP_3)
	v_dual_add_f32 v2, v3, v2 :: v_dual_fmamk_f32 v3, v4, 0xbeedf032, v92
	v_dual_add_f32 v29, v29, v41 :: v_dual_fmac_f32 v92, 0x3eedf032, v4
	v_mul_f32_e32 v45, 0xbf52af12, v76
	v_add_f32_e32 v39, v39, v62
	s_delay_alu instid0(VALU_DEP_4)
	v_add_f32_e32 v2, v3, v2
	v_add_f32_e32 v3, v15, v14
	v_fmamk_f32 v14, v11, 0xbf788fa5, v94
	v_fmamk_f32 v44, v10, 0x3f116cb1, v45
	v_add_f32_e32 v39, v46, v39
	v_add_f32_e32 v29, v31, v29
	v_fmac_f32_e32 v90, 0x3e750f2a, v9
	s_delay_alu instid0(VALU_DEP_4) | instskip(NEXT) | instid1(VALU_DEP_4)
	v_dual_add_f32 v14, v14, v3 :: v_dual_add_f32 v43, v44, v68
	v_dual_mul_f32 v68, 0xbf6f5d39, v28 :: v_dual_add_f32 v39, v71, v39
	v_mul_f32_e32 v132, 0x3df6dbef, v72
	s_delay_alu instid0(VALU_DEP_3) | instskip(SKIP_4) | instid1(VALU_DEP_4)
	v_add_f32_e32 v14, v22, v14
	v_fmamk_f32 v22, v5, 0xbeb58ec6, v101
	v_fmamk_f32 v15, v6, 0x3f6f5d39, v95
	v_dual_add_f32 v39, v74, v39 :: v_dual_fmac_f32 v104, 0x3e750f2a, v4
	v_fmamk_f32 v135, v4, 0xbf7e222b, v132
	v_add_f32_e32 v22, v24, v22
	s_delay_alu instid0(VALU_DEP_4)
	v_dual_add_f32 v3, v15, v2 :: v_dual_add_f32 v2, v25, v21
	v_fmamk_f32 v15, v16, 0xbf29c268, v98
	v_mul_f32_e32 v138, 0x3f116cb1, v26
	v_mul_f32_e32 v46, 0xbf3f9e67, v72
	v_add_f32_e32 v20, v25, v20
	v_fmac_f32_e32 v18, 0x3eedf032, v16
	v_dual_add_f32 v2, v15, v2 :: v_dual_fmamk_f32 v15, v8, 0xbeedf032, v99
	v_fmac_f32_e32 v84, 0xbf29c268, v17
	v_fmac_f32_e32 v96, 0xbf6f5d39, v17
	v_fmamk_f32 v71, v4, 0x3f29c268, v46
	v_fmac_f32_e32 v98, 0x3f29c268, v16
	v_dual_add_f32 v2, v15, v2 :: v_dual_fmamk_f32 v15, v9, 0x3f7e222b, v102
	v_fmac_f32_e32 v102, 0xbf7e222b, v9
	v_add_f32_e32 v18, v18, v20
	v_fma_f32 v20, 0xbf3f9e67, v7, -v80
	s_delay_alu instid0(VALU_DEP_4) | instskip(SKIP_1) | instid1(VALU_DEP_2)
	v_dual_fmac_f32 v132, 0x3f7e222b, v4 :: v_dual_add_f32 v15, v15, v2
	v_mul_f32_e32 v100, 0xbf6f5d39, v86
	v_dual_fmac_f32 v46, 0xbf29c268, v4 :: v_dual_add_f32 v15, v107, v15
	s_delay_alu instid0(VALU_DEP_2) | instskip(NEXT) | instid1(VALU_DEP_1)
	v_fmamk_f32 v21, v13, 0xbeb58ec6, v100
	v_dual_mul_f32 v107, 0x3f116cb1, v77 :: v_dual_add_f32 v2, v21, v14
	v_dual_add_f32 v14, v105, v22 :: v_dual_fmamk_f32 v21, v7, 0x3f62ad3f, v106
	v_mul_f32_e32 v105, 0xbf7e222b, v28
	s_delay_alu instid0(VALU_DEP_3) | instskip(SKIP_1) | instid1(VALU_DEP_3)
	v_fmamk_f32 v22, v6, 0xbf52af12, v107
	v_fmac_f32_e32 v107, 0x3f52af12, v6
	v_dual_add_f32 v14, v21, v14 :: v_dual_fmamk_f32 v21, v11, 0x3df6dbef, v105
	s_delay_alu instid0(VALU_DEP_3) | instskip(SKIP_2) | instid1(VALU_DEP_4)
	v_dual_add_f32 v15, v22, v15 :: v_dual_add_f32 v22, v25, v110
	v_fmamk_f32 v110, v16, 0x3e750f2a, v111
	v_fmac_f32_e32 v108, 0xbf7e222b, v17
	v_dual_add_f32 v14, v21, v14 :: v_dual_fmamk_f32 v21, v12, 0xbf788fa5, v109
	s_delay_alu instid0(VALU_DEP_1) | instskip(NEXT) | instid1(VALU_DEP_4)
	v_add_f32_e32 v14, v21, v14
	v_dual_add_f32 v21, v110, v22 :: v_dual_fmamk_f32 v22, v8, 0xbf6f5d39, v112
	v_mul_f32_e32 v110, 0x3f62ad3f, v69
	s_delay_alu instid0(VALU_DEP_3) | instskip(SKIP_1) | instid1(VALU_DEP_3)
	v_dual_mul_f32 v69, 0xbeb58ec6, v69 :: v_dual_add_f32 v14, v115, v14
	v_add_f32_e32 v115, v119, v116
	v_dual_add_f32 v21, v22, v21 :: v_dual_fmamk_f32 v22, v9, 0xbeedf032, v110
	v_mul_f32_e32 v119, 0x3eedf032, v28
	v_fmac_f32_e32 v99, 0x3eedf032, v8
	v_dual_add_f32 v29, v33, v29 :: v_dual_fmac_f32 v112, 0x3f6f5d39, v8
	s_delay_alu instid0(VALU_DEP_4) | instskip(SKIP_1) | instid1(VALU_DEP_3)
	v_dual_add_f32 v21, v22, v21 :: v_dual_fmamk_f32 v22, v4, 0x3f52af12, v118
	v_fmamk_f32 v116, v7, 0xbeb58ec6, v120
	v_add_f32_e32 v35, v35, v29
	v_fmac_f32_e32 v110, 0x3eedf032, v9
	s_delay_alu instid0(VALU_DEP_4) | instskip(NEXT) | instid1(VALU_DEP_4)
	v_dual_fmac_f32 v118, 0xbf52af12, v4 :: v_dual_add_f32 v21, v22, v21
	v_dual_add_f32 v22, v116, v115 :: v_dual_fmamk_f32 v115, v11, 0x3f62ad3f, v119
	v_mul_f32_e32 v116, 0xbf52af12, v30
	v_fmamk_f32 v124, v17, 0x3f52af12, v122
	v_dual_add_f32 v35, v37, v35 :: v_dual_fmac_f32 v122, 0xbf52af12, v17
	s_delay_alu instid0(VALU_DEP_3) | instskip(NEXT) | instid1(VALU_DEP_3)
	v_dual_add_f32 v115, v115, v22 :: v_dual_fmamk_f32 v126, v12, 0x3f116cb1, v116
	v_dual_add_f32 v22, v123, v21 :: v_dual_add_f32 v21, v25, v124
	v_fmamk_f32 v123, v16, 0x3f6f5d39, v125
	v_mul_f32_e32 v124, 0xbf788fa5, v47
	s_delay_alu instid0(VALU_DEP_4) | instskip(SKIP_1) | instid1(VALU_DEP_4)
	v_dual_add_f32 v115, v126, v115 :: v_dual_mul_f32 v126, 0xbf29c268, v86
	v_fmac_f32_e32 v111, 0xbe750f2a, v16
	v_add_f32_e32 v21, v123, v21
	s_delay_alu instid0(VALU_DEP_4)
	v_fmamk_f32 v123, v8, 0x3e750f2a, v124
	v_fmac_f32_e32 v63, 0xbf29c268, v8
	v_fmamk_f32 v129, v13, 0xbf3f9e67, v126
	v_mul_f32_e32 v47, 0x3df6dbef, v47
	v_fmac_f32_e32 v85, 0x3f7e222b, v16
	v_add_f32_e32 v21, v123, v21
	v_dual_fmamk_f32 v123, v9, 0xbf29c268, v128 :: v_dual_add_f32 v18, v63, v18
	v_fmac_f32_e32 v125, 0xbf6f5d39, v16
	v_fmac_f32_e32 v124, 0xbe750f2a, v8
	v_fma_f32 v37, 0x3f116cb1, v13, -v113
	s_delay_alu instid0(VALU_DEP_4)
	v_add_f32_e32 v123, v123, v21
	v_add_f32_e32 v21, v129, v115
	v_dual_add_f32 v115, v133, v130 :: v_dual_mul_f32 v130, 0x3f29c268, v28
	v_dual_add_f32 v28, v73, v39 :: v_dual_fmamk_f32 v129, v7, 0xbf788fa5, v134
	v_add_f32_e32 v18, v34, v18
	v_fmac_f32_e32 v95, 0xbf6f5d39, v6
	v_fmac_f32_e32 v128, 0x3f29c268, v9
	s_delay_alu instid0(VALU_DEP_4)
	v_add_f32_e32 v28, v40, v28
	v_mul_f32_e32 v40, 0xbf29c268, v30
	v_add_f32_e32 v18, v32, v18
	v_fma_f32 v32, 0x3df6dbef, v13, -v88
	v_add_f32_e32 v34, v25, v96
	v_dual_add_f32 v28, v36, v28 :: v_dual_mul_f32 v133, 0x3f62ad3f, v77
	v_fmamk_f32 v31, v12, 0xbf3f9e67, v40
	v_fma_f32 v36, 0xbf788fa5, v12, -v109
	s_delay_alu instid0(VALU_DEP_3) | instskip(NEXT) | instid1(VALU_DEP_4)
	v_dual_add_f32 v19, v19, v35 :: v_dual_add_f32 v28, v38, v28
	v_dual_fmamk_f32 v136, v6, 0xbeedf032, v133 :: v_dual_add_f32 v123, v135, v123
	v_mul_f32_e32 v135, 0x3f62ad3f, v27
	v_add_f32_e32 v27, v129, v115
	v_fmamk_f32 v115, v11, 0xbf3f9e67, v130
	v_mul_f32_e32 v129, 0x3f7e222b, v30
	v_fma_f32 v35, 0x3f62ad3f, v10, -v78
	v_fmamk_f32 v137, v17, 0x3eedf032, v135
	v_add_f32_e32 v38, v25, v122
	v_add_f32_e32 v26, v115, v27
	;; [unrolled: 1-line block ×3, first 2 shown]
	s_delay_alu instid0(VALU_DEP_4) | instskip(NEXT) | instid1(VALU_DEP_4)
	v_dual_fmamk_f32 v136, v16, 0x3f52af12, v138 :: v_dual_add_f32 v123, v25, v137
	v_dual_fmac_f32 v87, 0xbf52af12, v8 :: v_dual_add_f32 v38, v125, v38
	v_fmac_f32_e32 v138, 0xbf52af12, v16
	s_delay_alu instid0(VALU_DEP_3) | instskip(SKIP_1) | instid1(VALU_DEP_4)
	v_dual_add_f32 v34, v98, v34 :: v_dual_add_f32 v123, v136, v123
	v_fmamk_f32 v136, v8, 0x3f7e222b, v47
	v_dual_add_f32 v38, v124, v38 :: v_dual_fmac_f32 v47, 0xbf7e222b, v8
	s_delay_alu instid0(VALU_DEP_2) | instskip(SKIP_1) | instid1(VALU_DEP_3)
	v_dual_fmac_f32 v133, 0x3eedf032, v6 :: v_dual_add_f32 v70, v136, v123
	v_fmamk_f32 v123, v9, 0x3f6f5d39, v69
	v_dual_fmac_f32 v69, 0xbf6f5d39, v9 :: v_dual_add_f32 v38, v128, v38
	s_delay_alu instid0(VALU_DEP_2) | instskip(NEXT) | instid1(VALU_DEP_1)
	v_add_f32_e32 v62, v123, v70
	v_dual_mul_f32 v70, 0xbf7e222b, v79 :: v_dual_add_f32 v39, v71, v62
	s_delay_alu instid0(VALU_DEP_1) | instskip(NEXT) | instid1(VALU_DEP_1)
	v_fmamk_f32 v44, v7, 0x3df6dbef, v70
	v_add_f32_e32 v41, v44, v43
	v_fmamk_f32 v43, v11, 0xbeb58ec6, v68
	v_mul_f32_e32 v44, 0xbf788fa5, v77
	s_delay_alu instid0(VALU_DEP_2) | instskip(NEXT) | instid1(VALU_DEP_2)
	v_dual_add_f32 v30, v43, v41 :: v_dual_mul_f32 v41, 0xbe750f2a, v86
	v_fmamk_f32 v33, v6, 0x3e750f2a, v44
	v_fmac_f32_e32 v44, 0xbe750f2a, v6
	s_delay_alu instid0(VALU_DEP_3) | instskip(NEXT) | instid1(VALU_DEP_3)
	v_dual_add_f32 v30, v31, v30 :: v_dual_fmamk_f32 v31, v13, 0xbf788fa5, v41
	v_add_f32_e32 v29, v33, v39
	s_delay_alu instid0(VALU_DEP_2) | instskip(SKIP_1) | instid1(VALU_DEP_2)
	v_dual_add_f32 v33, v64, v28 :: v_dual_add_f32 v28, v31, v30
	v_fma_f32 v30, 0xbf788fa5, v5, -v75
	v_add_f32_e32 v31, v61, v33
	v_fmac_f32_e32 v135, 0xbeedf032, v17
	s_delay_alu instid0(VALU_DEP_3) | instskip(SKIP_3) | instid1(VALU_DEP_4)
	v_dual_add_f32 v33, v24, v30 :: v_dual_add_f32 v30, v23, v19
	v_fmamk_f32 v115, v12, 0x3df6dbef, v129
	v_add_f32_e32 v23, v25, v84
	v_fma_f32 v9, 0x3df6dbef, v12, -v129
	v_add_f32_e32 v19, v35, v33
	v_fma_f32 v33, 0xbf3f9e67, v5, -v89
	s_delay_alu instid0(VALU_DEP_4) | instskip(SKIP_1) | instid1(VALU_DEP_4)
	v_dual_add_f32 v26, v115, v26 :: v_dual_add_f32 v23, v85, v23
	v_fma_f32 v35, 0xbf3f9e67, v10, -v103
	v_add_f32_e32 v19, v20, v19
	v_fma_f32 v20, 0x3f116cb1, v11, -v81
	s_delay_alu instid0(VALU_DEP_4) | instskip(NEXT) | instid1(VALU_DEP_2)
	v_add_f32_e32 v23, v87, v23
	v_add_f32_e32 v19, v20, v19
	v_fma_f32 v20, 0xbeb58ec6, v12, -v83
	v_mul_f32_e32 v115, 0x3eedf032, v86
	s_delay_alu instid0(VALU_DEP_4) | instskip(NEXT) | instid1(VALU_DEP_2)
	v_add_f32_e32 v23, v90, v23
	v_dual_add_f32 v20, v20, v19 :: v_dual_fmamk_f32 v137, v13, 0x3f62ad3f, v115
	s_delay_alu instid0(VALU_DEP_1) | instskip(NEXT) | instid1(VALU_DEP_3)
	v_dual_add_f32 v19, v82, v18 :: v_dual_add_f32 v18, v32, v20
	v_add_f32_e32 v20, v92, v23
	v_add_f32_e32 v23, v24, v33
	v_fma_f32 v32, 0x3df6dbef, v10, -v91
	v_add_f32_e32 v26, v137, v26
	v_fmac_f32_e32 v121, 0xbf29c268, v6
	v_add_f32_e32 v33, v95, v20
	v_fma_f32 v20, 0xbeb58ec6, v5, -v101
	v_add_f32_e32 v23, v32, v23
	v_fma_f32 v32, 0x3f116cb1, v7, -v93
	s_delay_alu instid0(VALU_DEP_3) | instskip(NEXT) | instid1(VALU_DEP_2)
	v_add_f32_e32 v20, v24, v20
	v_add_f32_e32 v23, v32, v23
	v_fma_f32 v32, 0xbf788fa5, v11, -v94
	s_delay_alu instid0(VALU_DEP_3) | instskip(SKIP_1) | instid1(VALU_DEP_3)
	v_add_f32_e32 v20, v35, v20
	v_fma_f32 v35, 0x3f62ad3f, v7, -v106
	v_add_f32_e32 v23, v32, v23
	v_fma_f32 v32, 0x3f62ad3f, v12, -v97
	s_delay_alu instid0(VALU_DEP_3) | instskip(SKIP_1) | instid1(VALU_DEP_3)
	v_add_f32_e32 v20, v35, v20
	v_fma_f32 v35, 0x3df6dbef, v11, -v105
	v_add_f32_e32 v23, v32, v23
	v_fma_f32 v32, 0xbeb58ec6, v13, -v100
	s_delay_alu instid0(VALU_DEP_3) | instskip(NEXT) | instid1(VALU_DEP_2)
	v_add_f32_e32 v20, v35, v20
	v_add_f32_e32 v32, v32, v23
	v_fma_f32 v23, 0x3df6dbef, v5, -v114
	s_delay_alu instid0(VALU_DEP_3) | instskip(SKIP_1) | instid1(VALU_DEP_3)
	v_add_f32_e32 v20, v36, v20
	v_fma_f32 v36, 0xbf788fa5, v10, -v117
	v_add_f32_e32 v23, v24, v23
	s_delay_alu instid0(VALU_DEP_1) | instskip(SKIP_1) | instid1(VALU_DEP_1)
	v_add_f32_e32 v23, v36, v23
	v_fma_f32 v36, 0xbeb58ec6, v7, -v120
	v_add_f32_e32 v23, v36, v23
	v_fma_f32 v36, 0x3f62ad3f, v11, -v119
	s_delay_alu instid0(VALU_DEP_1) | instskip(SKIP_1) | instid1(VALU_DEP_1)
	v_add_f32_e32 v23, v36, v23
	v_fma_f32 v36, 0x3f116cb1, v12, -v116
	v_add_f32_e32 v23, v36, v23
	v_fma_f32 v36, 0xbf3f9e67, v13, -v126
	s_delay_alu instid0(VALU_DEP_1) | instskip(SKIP_2) | instid1(VALU_DEP_2)
	v_add_f32_e32 v36, v36, v23
	v_add_f32_e32 v34, v99, v34
	;; [unrolled: 1-line block ×4, first 2 shown]
	s_delay_alu instid0(VALU_DEP_1) | instskip(NEXT) | instid1(VALU_DEP_1)
	v_add_f32_e32 v34, v104, v34
	v_dual_add_f32 v35, v107, v34 :: v_dual_add_f32 v34, v25, v108
	s_delay_alu instid0(VALU_DEP_1) | instskip(NEXT) | instid1(VALU_DEP_1)
	v_dual_add_f32 v25, v25, v135 :: v_dual_add_f32 v34, v111, v34
	v_add_f32_e32 v34, v112, v34
	s_delay_alu instid0(VALU_DEP_1) | instskip(NEXT) | instid1(VALU_DEP_1)
	v_add_f32_e32 v34, v110, v34
	v_dual_add_f32 v39, v118, v34 :: v_dual_add_f32 v34, v37, v20
	v_fma_f32 v20, 0x3f116cb1, v5, -v127
	v_fma_f32 v5, 0x3f62ad3f, v5, -v42
	s_delay_alu instid0(VALU_DEP_2) | instskip(SKIP_1) | instid1(VALU_DEP_3)
	v_add_f32_e32 v17, v24, v20
	v_fma_f32 v20, 0xbeb58ec6, v10, -v131
	v_add_f32_e32 v5, v24, v5
	v_fma_f32 v10, 0x3f116cb1, v10, -v45
	s_delay_alu instid0(VALU_DEP_3) | instskip(SKIP_2) | instid1(VALU_DEP_4)
	v_add_f32_e32 v16, v20, v17
	v_fma_f32 v17, 0xbf788fa5, v7, -v134
	v_add_f32_e32 v20, v138, v25
	v_add_f32_e32 v5, v10, v5
	v_fma_f32 v7, 0x3df6dbef, v7, -v70
	v_fma_f32 v10, 0xbf3f9e67, v11, -v130
	v_add_f32_e32 v8, v17, v16
	v_add_f32_e32 v16, v47, v20
	s_delay_alu instid0(VALU_DEP_4) | instskip(SKIP_1) | instid1(VALU_DEP_4)
	v_add_f32_e32 v5, v7, v5
	v_fma_f32 v7, 0xbeb58ec6, v11, -v68
	v_add_f32_e32 v8, v10, v8
	s_delay_alu instid0(VALU_DEP_4) | instskip(SKIP_1) | instid1(VALU_DEP_4)
	v_add_f32_e32 v10, v69, v16
	v_lshl_add_u32 v11, v65, 3, v67
	v_add_f32_e32 v4, v7, v5
	v_fma_f32 v5, 0xbf3f9e67, v12, -v40
	v_add_f32_e32 v7, v9, v8
	v_fma_f32 v8, 0x3f62ad3f, v13, -v115
	v_add_f32_e32 v9, v46, v10
	v_fma_f32 v10, 0xbf788fa5, v13, -v41
	v_add_f32_e32 v6, v5, v4
	v_add_f32_e32 v37, v121, v39
	;; [unrolled: 1-line block ×4, first 2 shown]
	s_delay_alu instid0(VALU_DEP_4)
	v_dual_add_f32 v7, v44, v9 :: v_dual_add_f32 v6, v10, v6
	ds_store_b64 v66, v[30:31]
	ds_store_2addr_b64 v11, v[28:29], v[26:27] offset0:6 offset1:12
	ds_store_2addr_b64 v11, v[21:22], v[14:15] offset0:18 offset1:24
	;; [unrolled: 1-line block ×6, first 2 shown]
.LBB0_9:
	s_wait_alu 0xfffe
	s_or_b32 exec_lo, exec_lo, s2
	global_wb scope:SCOPE_SE
	s_wait_dscnt 0x0
	s_barrier_signal -1
	s_barrier_wait -1
	global_inv scope:SCOPE_SE
	ds_load_2addr_b64 v[0:3], v66 offset1:13
	ds_load_2addr_b64 v[4:7], v66 offset0:26 offset1:39
	ds_load_2addr_b64 v[8:11], v66 offset0:52 offset1:65
	v_mad_co_u64_u32 v[24:25], null, s6, v48, 0
	v_mad_co_u64_u32 v[26:27], null, s4, v65, 0
	s_mov_b32 s2, 0x1a41a41a
	s_mov_b32 s3, 0x3f8a41a4
	s_delay_alu instid0(VALU_DEP_1)
	v_mad_co_u64_u32 v[28:29], null, s7, v48, v[25:26]
	s_wait_dscnt 0x1
	v_dual_mul_f32 v12, v50, v1 :: v_dual_mul_f32 v17, v56, v4
	v_dual_mul_f32 v13, v50, v0 :: v_dual_mul_f32 v16, v56, v5
	;; [unrolled: 1-line block ×3, first 2 shown]
	s_wait_dscnt 0x0
	v_dual_mul_f32 v20, v52, v6 :: v_dual_mul_f32 v21, v58, v9
	v_mul_f32_e32 v14, v54, v3
	v_dual_mul_f32 v22, v58, v8 :: v_dual_mul_f32 v23, v60, v11
	v_mad_co_u64_u32 v[29:30], null, s5, v65, v[27:28]
	v_fmac_f32_e32 v12, v49, v0
	v_fma_f32 v13, v49, v1, -v13
	s_delay_alu instid0(VALU_DEP_4)
	v_fmac_f32_e32 v23, v59, v10
	v_fmac_f32_e32 v18, v51, v6
	v_mul_f32_e32 v6, v60, v10
	v_fma_f32 v15, v53, v3, -v15
	v_fmac_f32_e32 v21, v57, v8
	v_dual_fmac_f32 v14, v53, v2 :: v_dual_mov_b32 v25, v28
	v_dual_fmac_f32 v16, v55, v4 :: v_dual_mov_b32 v27, v29
	v_fma_f32 v17, v55, v5, -v17
	v_fma_f32 v7, v51, v7, -v20
	;; [unrolled: 1-line block ×3, first 2 shown]
	v_cvt_f64_f32_e32 v[0:1], v12
	v_cvt_f64_f32_e32 v[2:3], v13
	v_fma_f32 v22, v59, v11, -v6
	v_cvt_f64_f32_e32 v[4:5], v14
	v_cvt_f64_f32_e32 v[12:13], v15
	;; [unrolled: 1-line block ×10, first 2 shown]
	v_lshlrev_b64_e32 v[24:25], 3, v[24:25]
	v_lshlrev_b64_e32 v[26:27], 3, v[26:27]
	s_wait_alu 0xfffe
	v_mul_f64_e32 v[0:1], s[2:3], v[0:1]
	v_mul_f64_e32 v[2:3], s[2:3], v[2:3]
	;; [unrolled: 1-line block ×12, first 2 shown]
	v_cvt_f32_f64_e32 v0, v[0:1]
	v_cvt_f32_f64_e32 v1, v[2:3]
	;; [unrolled: 1-line block ×12, first 2 shown]
	v_add_co_u32 v10, vcc_lo, s0, v24
	s_wait_alu 0xfffd
	v_add_co_ci_u32_e32 v11, vcc_lo, s1, v25, vcc_lo
	s_mul_u64 s[0:1], s[4:5], 0x68
	s_delay_alu instid0(VALU_DEP_2) | instskip(SKIP_1) | instid1(VALU_DEP_2)
	v_add_co_u32 v10, vcc_lo, v10, v26
	s_wait_alu 0xfffd
	v_add_co_ci_u32_e32 v11, vcc_lo, v11, v27, vcc_lo
	s_wait_alu 0xfffe
	s_delay_alu instid0(VALU_DEP_2) | instskip(SKIP_1) | instid1(VALU_DEP_2)
	v_add_co_u32 v14, vcc_lo, v10, s0
	s_wait_alu 0xfffd
	v_add_co_ci_u32_e32 v15, vcc_lo, s1, v11, vcc_lo
	s_delay_alu instid0(VALU_DEP_2) | instskip(SKIP_1) | instid1(VALU_DEP_2)
	v_add_co_u32 v16, vcc_lo, v14, s0
	s_wait_alu 0xfffd
	v_add_co_ci_u32_e32 v17, vcc_lo, s1, v15, vcc_lo
	;; [unrolled: 4-line block ×5, first 2 shown]
	s_clause 0x4
	global_store_b64 v[10:11], v[0:1], off
	global_store_b64 v[14:15], v[2:3], off
	;; [unrolled: 1-line block ×6, first 2 shown]
.LBB0_10:
	s_nop 0
	s_sendmsg sendmsg(MSG_DEALLOC_VGPRS)
	s_endpgm
	.section	.rodata,"a",@progbits
	.p2align	6, 0x0
	.amdhsa_kernel bluestein_single_back_len78_dim1_sp_op_CI_CI
		.amdhsa_group_segment_fixed_size 11856
		.amdhsa_private_segment_fixed_size 0
		.amdhsa_kernarg_size 104
		.amdhsa_user_sgpr_count 2
		.amdhsa_user_sgpr_dispatch_ptr 0
		.amdhsa_user_sgpr_queue_ptr 0
		.amdhsa_user_sgpr_kernarg_segment_ptr 1
		.amdhsa_user_sgpr_dispatch_id 0
		.amdhsa_user_sgpr_private_segment_size 0
		.amdhsa_wavefront_size32 1
		.amdhsa_uses_dynamic_stack 0
		.amdhsa_enable_private_segment 0
		.amdhsa_system_sgpr_workgroup_id_x 1
		.amdhsa_system_sgpr_workgroup_id_y 0
		.amdhsa_system_sgpr_workgroup_id_z 0
		.amdhsa_system_sgpr_workgroup_info 0
		.amdhsa_system_vgpr_workitem_id 0
		.amdhsa_next_free_vgpr 227
		.amdhsa_next_free_sgpr 20
		.amdhsa_reserve_vcc 1
		.amdhsa_float_round_mode_32 0
		.amdhsa_float_round_mode_16_64 0
		.amdhsa_float_denorm_mode_32 3
		.amdhsa_float_denorm_mode_16_64 3
		.amdhsa_fp16_overflow 0
		.amdhsa_workgroup_processor_mode 1
		.amdhsa_memory_ordered 1
		.amdhsa_forward_progress 0
		.amdhsa_round_robin_scheduling 0
		.amdhsa_exception_fp_ieee_invalid_op 0
		.amdhsa_exception_fp_denorm_src 0
		.amdhsa_exception_fp_ieee_div_zero 0
		.amdhsa_exception_fp_ieee_overflow 0
		.amdhsa_exception_fp_ieee_underflow 0
		.amdhsa_exception_fp_ieee_inexact 0
		.amdhsa_exception_int_div_zero 0
	.end_amdhsa_kernel
	.text
.Lfunc_end0:
	.size	bluestein_single_back_len78_dim1_sp_op_CI_CI, .Lfunc_end0-bluestein_single_back_len78_dim1_sp_op_CI_CI
                                        ; -- End function
	.section	.AMDGPU.csdata,"",@progbits
; Kernel info:
; codeLenInByte = 9304
; NumSgprs: 22
; NumVgprs: 227
; ScratchSize: 0
; MemoryBound: 0
; FloatMode: 240
; IeeeMode: 1
; LDSByteSize: 11856 bytes/workgroup (compile time only)
; SGPRBlocks: 2
; VGPRBlocks: 28
; NumSGPRsForWavesPerEU: 22
; NumVGPRsForWavesPerEU: 227
; Occupancy: 6
; WaveLimiterHint : 1
; COMPUTE_PGM_RSRC2:SCRATCH_EN: 0
; COMPUTE_PGM_RSRC2:USER_SGPR: 2
; COMPUTE_PGM_RSRC2:TRAP_HANDLER: 0
; COMPUTE_PGM_RSRC2:TGID_X_EN: 1
; COMPUTE_PGM_RSRC2:TGID_Y_EN: 0
; COMPUTE_PGM_RSRC2:TGID_Z_EN: 0
; COMPUTE_PGM_RSRC2:TIDIG_COMP_CNT: 0
	.text
	.p2alignl 7, 3214868480
	.fill 96, 4, 3214868480
	.type	__hip_cuid_fe3be1e25ba6903c,@object ; @__hip_cuid_fe3be1e25ba6903c
	.section	.bss,"aw",@nobits
	.globl	__hip_cuid_fe3be1e25ba6903c
__hip_cuid_fe3be1e25ba6903c:
	.byte	0                               ; 0x0
	.size	__hip_cuid_fe3be1e25ba6903c, 1

	.ident	"AMD clang version 19.0.0git (https://github.com/RadeonOpenCompute/llvm-project roc-6.4.0 25133 c7fe45cf4b819c5991fe208aaa96edf142730f1d)"
	.section	".note.GNU-stack","",@progbits
	.addrsig
	.addrsig_sym __hip_cuid_fe3be1e25ba6903c
	.amdgpu_metadata
---
amdhsa.kernels:
  - .args:
      - .actual_access:  read_only
        .address_space:  global
        .offset:         0
        .size:           8
        .value_kind:     global_buffer
      - .actual_access:  read_only
        .address_space:  global
        .offset:         8
        .size:           8
        .value_kind:     global_buffer
      - .actual_access:  read_only
        .address_space:  global
        .offset:         16
        .size:           8
        .value_kind:     global_buffer
      - .actual_access:  read_only
        .address_space:  global
        .offset:         24
        .size:           8
        .value_kind:     global_buffer
      - .actual_access:  read_only
        .address_space:  global
        .offset:         32
        .size:           8
        .value_kind:     global_buffer
      - .offset:         40
        .size:           8
        .value_kind:     by_value
      - .address_space:  global
        .offset:         48
        .size:           8
        .value_kind:     global_buffer
      - .address_space:  global
        .offset:         56
        .size:           8
        .value_kind:     global_buffer
      - .address_space:  global
        .offset:         64
        .size:           8
        .value_kind:     global_buffer
      - .address_space:  global
        .offset:         72
        .size:           8
        .value_kind:     global_buffer
      - .offset:         80
        .size:           4
        .value_kind:     by_value
      - .address_space:  global
        .offset:         88
        .size:           8
        .value_kind:     global_buffer
      - .address_space:  global
        .offset:         96
        .size:           8
        .value_kind:     global_buffer
    .group_segment_fixed_size: 11856
    .kernarg_segment_align: 8
    .kernarg_segment_size: 104
    .language:       OpenCL C
    .language_version:
      - 2
      - 0
    .max_flat_workgroup_size: 247
    .name:           bluestein_single_back_len78_dim1_sp_op_CI_CI
    .private_segment_fixed_size: 0
    .sgpr_count:     22
    .sgpr_spill_count: 0
    .symbol:         bluestein_single_back_len78_dim1_sp_op_CI_CI.kd
    .uniform_work_group_size: 1
    .uses_dynamic_stack: false
    .vgpr_count:     227
    .vgpr_spill_count: 0
    .wavefront_size: 32
    .workgroup_processor_mode: 1
amdhsa.target:   amdgcn-amd-amdhsa--gfx1201
amdhsa.version:
  - 1
  - 2
...

	.end_amdgpu_metadata
